;; amdgpu-corpus repo=ROCm/rocFFT kind=compiled arch=gfx1030 opt=O3
	.text
	.amdgcn_target "amdgcn-amd-amdhsa--gfx1030"
	.amdhsa_code_object_version 6
	.protected	bluestein_single_back_len288_dim1_dp_op_CI_CI ; -- Begin function bluestein_single_back_len288_dim1_dp_op_CI_CI
	.globl	bluestein_single_back_len288_dim1_dp_op_CI_CI
	.p2align	8
	.type	bluestein_single_back_len288_dim1_dp_op_CI_CI,@function
bluestein_single_back_len288_dim1_dp_op_CI_CI: ; @bluestein_single_back_len288_dim1_dp_op_CI_CI
; %bb.0:
	s_load_dwordx4 s[16:19], s[4:5], 0x28
	v_mul_u32_u24_e32 v1, 0xaab, v0
	s_mov_b32 s0, exec_lo
	v_lshrrev_b32_e32 v1, 16, v1
	v_mad_u64_u32 v[148:149], null, s6, 5, v[1:2]
	v_mov_b32_e32 v149, 0
	s_waitcnt lgkmcnt(0)
	v_cmpx_gt_u64_e64 s[16:17], v[148:149]
	s_cbranch_execz .LBB0_2
; %bb.1:
	s_clause 0x1
	s_load_dwordx4 s[0:3], s[4:5], 0x18
	s_load_dwordx4 s[8:11], s[4:5], 0x0
	v_mul_lo_u16 v1, v1, 24
	v_mul_hi_u32 v96, 0xcccccccd, v148
	v_mov_b32_e32 v183, 36
	v_sub_nc_u16 v157, v0, v1
	v_lshrrev_b32_e32 v100, 2, v96
	v_and_b32_e32 v151, 0xffff, v157
	v_lshl_add_u32 v100, v100, 2, v100
	v_or_b32_e32 v149, 0xc0, v151
	v_or_b32_e32 v150, 0x60, v151
	v_lshlrev_b32_e32 v154, 4, v151
	s_waitcnt lgkmcnt(0)
	s_load_dwordx4 s[12:15], s[0:1], 0x0
	v_sub_nc_u32_e32 v100, v148, v100
	v_lshlrev_b32_e32 v155, 4, v149
	v_mul_u32_u24_e32 v161, 0x120, v100
	v_lshl_add_u32 v152, v161, 4, v154
	s_waitcnt lgkmcnt(0)
	v_mad_u64_u32 v[24:25], null, s14, v148, 0
	v_mad_u64_u32 v[26:27], null, s12, v151, 0
	s_mul_i32 s0, s13, 0x300
	s_mul_hi_u32 s1, s12, 0x300
	s_mul_i32 s6, s12, 0x300
	s_add_u32 s14, s8, 0x1200
	v_mov_b32_e32 v0, v25
	v_mad_u64_u32 v[32:33], null, s12, v150, 0
	v_mov_b32_e32 v4, v27
	s_mul_i32 s7, s13, 0xfffff280
	v_mad_u64_u32 v[27:28], null, s15, v148, v[0:1]
	s_addc_u32 s15, s9, 0
	v_mad_u64_u32 v[28:29], null, s13, v151, v[4:5]
	s_add_i32 s1, s1, s0
	v_add_co_u32 v36, s0, s8, v154
	v_mov_b32_e32 v25, v27
	v_add_co_ci_u32_e64 v37, null, s9, 0, s0
	v_mov_b32_e32 v27, v28
	v_mad_u64_u32 v[28:29], null, s12, v149, 0
	v_lshlrev_b64 v[24:25], 4, v[24:25]
	s_mul_i32 s0, s13, 0x600
	v_lshlrev_b64 v[26:27], 4, v[26:27]
	s_clause 0x5
	global_load_dwordx4 v[12:15], v154, s[8:9]
	global_load_dwordx4 v[0:3], v154, s[8:9] offset:384
	global_load_dwordx4 v[16:19], v154, s[8:9] offset:768
	;; [unrolled: 1-line block ×5, first 2 shown]
	v_add_co_u32 v38, vcc_lo, s18, v24
	v_add_co_ci_u32_e32 v39, vcc_lo, s19, v25, vcc_lo
	v_mov_b32_e32 v24, v29
	v_add_co_u32 v34, vcc_lo, v38, v26
	v_add_co_ci_u32_e32 v35, vcc_lo, v39, v27, vcc_lo
	v_mov_b32_e32 v25, v33
	v_add_co_u32 v40, vcc_lo, v34, s6
	v_add_co_ci_u32_e32 v41, vcc_lo, s1, v35, vcc_lo
	v_mad_u64_u32 v[29:30], null, s13, v149, v[24:25]
	v_mad_u64_u32 v[30:31], null, s13, v150, v[25:26]
	;; [unrolled: 1-line block ×3, first 2 shown]
	v_add_co_u32 v44, vcc_lo, 0x800, v36
	v_add_co_ci_u32_e32 v45, vcc_lo, 0, v37, vcc_lo
	v_mov_b32_e32 v33, v30
	v_add_co_u32 v92, vcc_lo, 0x1000, v36
	v_add_nc_u32_e32 v43, s0, v43
	v_add_co_ci_u32_e32 v93, vcc_lo, 0, v37, vcc_lo
	v_lshlrev_b64 v[36:37], 4, v[28:29]
	v_lshlrev_b64 v[32:33], 4, v[32:33]
	v_mad_u64_u32 v[46:47], null, 0x600, s12, v[42:43]
	s_clause 0x1
	global_load_dwordx4 v[24:27], v155, s[8:9]
	global_load_dwordx4 v[28:31], v[44:45], off offset:1792
	v_add_co_u32 v52, vcc_lo, v38, v36
	v_add_co_ci_u32_e32 v53, vcc_lo, v39, v37, vcc_lo
	v_add_nc_u32_e32 v47, s0, v47
	v_add_co_u32 v56, vcc_lo, v38, v32
	v_add_co_ci_u32_e32 v57, vcc_lo, v39, v33, vcc_lo
	v_mad_u64_u32 v[72:73], null, 0xfffff280, s12, v[46:47]
	s_sub_i32 s0, s7, s12
	global_load_dwordx4 v[48:51], v[34:35], off
	s_clause 0x1
	global_load_dwordx4 v[36:39], v[44:45], off offset:256
	global_load_dwordx4 v[32:35], v[44:45], off offset:640
	s_clause 0x3
	global_load_dwordx4 v[52:55], v[52:53], off
	global_load_dwordx4 v[56:59], v[56:57], off
	;; [unrolled: 1-line block ×4, first 2 shown]
	s_mov_b32 s9, 0xbfebb67a
	v_add_nc_u32_e32 v73, s0, v73
	v_add_co_u32 v40, vcc_lo, v72, s6
	v_add_co_ci_u32_e32 v41, vcc_lo, s1, v73, vcc_lo
	v_add_co_u32 v42, vcc_lo, v40, s6
	s_clause 0x1
	global_load_dwordx4 v[68:71], v[46:47], off
	global_load_dwordx4 v[72:75], v[72:73], off
	v_add_co_ci_u32_e32 v43, vcc_lo, s1, v41, vcc_lo
	v_add_co_u32 v46, vcc_lo, v42, s6
	global_load_dwordx4 v[76:79], v[40:41], off
	v_add_co_ci_u32_e32 v47, vcc_lo, s1, v43, vcc_lo
	v_add_co_u32 v88, vcc_lo, v46, s6
	global_load_dwordx4 v[80:83], v[42:43], off
	v_add_co_ci_u32_e32 v89, vcc_lo, s1, v47, vcc_lo
	v_add_co_u32 v94, vcc_lo, v88, s6
	s_mov_b32 s6, 0xe8584caa
	v_add_co_ci_u32_e32 v95, vcc_lo, s1, v89, vcc_lo
	global_load_dwordx4 v[84:87], v[46:47], off
	global_load_dwordx4 v[40:43], v[44:45], off offset:1408
	global_load_dwordx4 v[88:91], v[88:89], off
	global_load_dwordx4 v[44:47], v[92:93], off offset:128
	global_load_dwordx4 v[92:95], v[94:95], off
	s_load_dwordx4 s[0:3], s[2:3], 0x0
	s_mov_b32 s7, 0x3febb67a
	s_mov_b32 s8, s6
	v_cmp_gt_u16_e32 vcc_lo, 12, v157
	s_waitcnt vmcnt(15)
	v_mul_f64 v[96:97], v[50:51], v[14:15]
	v_mul_f64 v[98:99], v[48:49], v[14:15]
	s_waitcnt vmcnt(12)
	v_mul_f64 v[100:101], v[54:55], v[26:27]
	v_mul_f64 v[102:103], v[52:53], v[26:27]
	s_waitcnt vmcnt(11)
	v_mul_f64 v[104:105], v[58:59], v[22:23]
	v_mul_f64 v[106:107], v[56:57], v[22:23]
	s_waitcnt vmcnt(10)
	v_mul_f64 v[108:109], v[62:63], v[18:19]
	v_mul_f64 v[110:111], v[60:61], v[18:19]
	s_waitcnt vmcnt(9)
	v_mul_f64 v[112:113], v[66:67], v[38:39]
	v_mul_f64 v[114:115], v[64:65], v[38:39]
	s_waitcnt vmcnt(7)
	v_mul_f64 v[116:117], v[74:75], v[2:3]
	v_mul_f64 v[118:119], v[72:73], v[2:3]
	s_waitcnt vmcnt(6)
	v_mul_f64 v[120:121], v[78:79], v[6:7]
	v_fma_f64 v[48:49], v[48:49], v[12:13], v[96:97]
	v_fma_f64 v[50:51], v[50:51], v[12:13], -v[98:99]
	v_mul_f64 v[96:97], v[70:71], v[30:31]
	v_mul_f64 v[98:99], v[68:69], v[30:31]
	v_mul_f64 v[122:123], v[76:77], v[6:7]
	s_waitcnt vmcnt(5)
	v_mul_f64 v[124:125], v[82:83], v[10:11]
	v_mul_f64 v[126:127], v[80:81], v[10:11]
	v_fma_f64 v[52:53], v[52:53], v[24:25], v[100:101]
	s_waitcnt vmcnt(4)
	v_mul_f64 v[128:129], v[86:87], v[34:35]
	v_mul_f64 v[130:131], v[84:85], v[34:35]
	s_waitcnt vmcnt(2)
	v_mul_f64 v[132:133], v[90:91], v[42:43]
	v_mul_f64 v[134:135], v[88:89], v[42:43]
	;; [unrolled: 3-line block ×3, first 2 shown]
	v_fma_f64 v[54:55], v[54:55], v[24:25], -v[102:103]
	v_fma_f64 v[56:57], v[56:57], v[20:21], v[104:105]
	v_fma_f64 v[58:59], v[58:59], v[20:21], -v[106:107]
	v_fma_f64 v[60:61], v[60:61], v[16:17], v[108:109]
	;; [unrolled: 2-line block ×5, first 2 shown]
	v_fma_f64 v[68:69], v[68:69], v[28:29], v[96:97]
	v_fma_f64 v[70:71], v[70:71], v[28:29], -v[98:99]
	v_fma_f64 v[78:79], v[78:79], v[4:5], -v[122:123]
	v_fma_f64 v[80:81], v[80:81], v[8:9], v[124:125]
	v_fma_f64 v[82:83], v[82:83], v[8:9], -v[126:127]
	v_or_b32_e32 v96, v161, v151
	v_fma_f64 v[84:85], v[84:85], v[32:33], v[128:129]
	v_fma_f64 v[86:87], v[86:87], v[32:33], -v[130:131]
	v_fma_f64 v[88:89], v[88:89], v[40:41], v[132:133]
	v_fma_f64 v[90:91], v[90:91], v[40:41], -v[134:135]
	;; [unrolled: 2-line block ×3, first 2 shown]
	v_lshlrev_b32_e32 v153, 4, v96
	v_add_co_u32 v132, null, v151, 24
	v_mul_lo_u16 v112, v157, 6
	ds_write_b128 v153, v[48:51]
	ds_write_b128 v152, v[52:55] offset:3072
	ds_write_b128 v152, v[56:59] offset:1536
	;; [unrolled: 1-line block ×11, first 2 shown]
	s_waitcnt lgkmcnt(0)
	s_barrier
	buffer_gl0_inv
	ds_read_b128 v[48:51], v152 offset:3840
	ds_read_b128 v[52:55], v152 offset:2304
	;; [unrolled: 1-line block ×6, first 2 shown]
	v_and_b32_e32 v88, 0xff, v157
	ds_read_b128 v[72:75], v153
	ds_read_b128 v[76:79], v152 offset:3072
	ds_read_b128 v[80:83], v152 offset:1536
	v_and_b32_e32 v114, 0xff, v132
	v_and_b32_e32 v128, 0xffff, v112
	v_mul_lo_u16 v113, 0xab, v88
	v_mul_u32_u24_e32 v129, 6, v132
	v_add_lshl_u32 v158, v161, v128, 4
	v_lshrrev_b16 v133, 10, v113
	v_mul_lo_u16 v113, 0xab, v114
	v_add_lshl_u32 v156, v161, v129, 4
	v_mul_lo_u16 v130, v133, 6
	s_waitcnt lgkmcnt(7)
	v_add_f64 v[84:85], v[54:55], v[50:51]
	v_add_f64 v[86:87], v[52:53], v[48:49]
	s_waitcnt lgkmcnt(5)
	v_add_f64 v[92:93], v[62:63], v[58:59]
	v_add_f64 v[94:95], v[60:61], v[56:57]
	v_add_f64 v[96:97], v[54:55], -v[50:51]
	v_add_f64 v[98:99], v[52:53], -v[48:49]
	;; [unrolled: 1-line block ×4, first 2 shown]
	v_lshrrev_b16 v134, 10, v113
	s_waitcnt lgkmcnt(0)
	v_add_f64 v[112:113], v[80:81], v[76:77]
	v_add_f64 v[116:117], v[82:83], v[78:79]
	v_add_f64 v[118:119], v[82:83], -v[78:79]
	v_add_f64 v[82:83], v[74:75], v[82:83]
	v_add_f64 v[114:115], v[72:73], v[80:81]
	;; [unrolled: 1-line block ×4, first 2 shown]
	v_add_f64 v[80:81], v[80:81], -v[76:77]
	v_add_f64 v[60:61], v[68:69], v[60:61]
	v_add_f64 v[62:63], v[70:71], v[62:63]
	v_sub_nc_u16 v136, v157, v130
	v_fma_f64 v[100:101], v[84:85], -0.5, v[66:67]
	v_fma_f64 v[102:103], v[86:87], -0.5, v[64:65]
	;; [unrolled: 1-line block ×4, first 2 shown]
	ds_read_b128 v[84:87], v152 offset:1920
	ds_read_b128 v[88:91], v152 offset:3456
	;; [unrolled: 1-line block ×3, first 2 shown]
	s_waitcnt lgkmcnt(0)
	s_barrier
	buffer_gl0_inv
	v_fma_f64 v[68:69], v[112:113], -0.5, v[72:73]
	v_fma_f64 v[72:73], v[116:117], -0.5, v[74:75]
	v_mad_u16 v184, v133, 36, v136
	v_add_f64 v[78:79], v[82:83], v[78:79]
	v_add_f64 v[76:77], v[114:115], v[76:77]
	;; [unrolled: 1-line block ×6, first 2 shown]
	v_fma_f64 v[120:121], v[98:99], s[8:9], v[100:101]
	v_fma_f64 v[122:123], v[96:97], s[8:9], v[102:103]
	;; [unrolled: 1-line block ×4, first 2 shown]
	v_add_f64 v[100:101], v[84:85], v[88:89]
	v_add_f64 v[102:103], v[86:87], v[90:91]
	v_fma_f64 v[124:125], v[106:107], s[8:9], v[108:109]
	v_fma_f64 v[126:127], v[104:105], s[8:9], v[110:111]
	;; [unrolled: 1-line block ×4, first 2 shown]
	v_add_f64 v[64:65], v[92:93], v[84:85]
	v_add_f64 v[66:67], v[94:95], v[86:87]
	v_add_f64 v[70:71], v[86:87], -v[90:91]
	v_add_f64 v[74:75], v[84:85], -v[88:89]
	v_fma_f64 v[114:115], v[80:81], s[8:9], v[72:73]
	v_fma_f64 v[80:81], v[80:81], s[6:7], v[72:73]
	v_add_f64 v[48:49], v[76:77], v[52:53]
	v_add_f64 v[50:51], v[78:79], v[54:55]
	v_add_f64 v[52:53], v[76:77], -v[52:53]
	v_add_f64 v[54:55], v[78:79], -v[54:55]
	v_mul_f64 v[84:85], v[120:121], s[6:7]
	v_mul_f64 v[86:87], v[122:123], -0.5
	v_mul_f64 v[108:109], v[96:97], s[8:9]
	v_mul_f64 v[110:111], v[98:99], -0.5
	v_fma_f64 v[92:93], v[100:101], -0.5, v[92:93]
	v_fma_f64 v[94:95], v[102:103], -0.5, v[94:95]
	v_mul_f64 v[82:83], v[124:125], s[6:7]
	v_mul_f64 v[100:101], v[126:127], -0.5
	v_mul_f64 v[102:103], v[104:105], s[8:9]
	v_mul_f64 v[112:113], v[106:107], -0.5
	v_add_f64 v[64:65], v[64:65], v[88:89]
	v_add_f64 v[66:67], v[66:67], v[90:91]
	v_fma_f64 v[88:89], v[118:119], s[6:7], v[68:69]
	v_fma_f64 v[90:91], v[118:119], s[8:9], v[68:69]
	v_fma_f64 v[72:73], v[96:97], 0.5, v[84:85]
	v_fma_f64 v[84:85], v[98:99], s[6:7], v[86:87]
	v_fma_f64 v[86:87], v[120:121], 0.5, v[108:109]
	v_fma_f64 v[96:97], v[122:123], s[8:9], v[110:111]
	v_fma_f64 v[98:99], v[70:71], s[6:7], v[92:93]
	;; [unrolled: 1-line block ×3, first 2 shown]
	v_fma_f64 v[104:105], v[104:105], 0.5, v[82:83]
	v_fma_f64 v[92:93], v[70:71], s[8:9], v[92:93]
	v_fma_f64 v[102:103], v[124:125], 0.5, v[102:103]
	v_fma_f64 v[94:95], v[74:75], s[6:7], v[94:95]
	v_fma_f64 v[100:101], v[106:107], s[6:7], v[100:101]
	v_fma_f64 v[106:107], v[126:127], s[8:9], v[112:113]
	v_add_f64 v[56:57], v[64:65], v[60:61]
	v_add_f64 v[58:59], v[66:67], v[62:63]
	v_add_f64 v[60:61], v[64:65], -v[60:61]
	v_add_f64 v[62:63], v[66:67], -v[62:63]
	v_mul_lo_u16 v110, v134, 6
	v_mul_u32_u24_sdwa v134, v134, v183 dst_sel:DWORD dst_unused:UNUSED_PAD src0_sel:WORD_0 src1_sel:DWORD
	v_add_f64 v[64:65], v[88:89], v[72:73]
	v_add_f64 v[68:69], v[90:91], v[84:85]
	;; [unrolled: 1-line block ×4, first 2 shown]
	v_add_f64 v[72:73], v[88:89], -v[72:73]
	v_add_f64 v[74:75], v[114:115], -v[86:87]
	;; [unrolled: 1-line block ×4, first 2 shown]
	v_add_f64 v[80:81], v[98:99], v[104:105]
	v_add_f64 v[82:83], v[108:109], v[102:103]
	;; [unrolled: 1-line block ×4, first 2 shown]
	v_and_b32_e32 v96, 0xff, v136
	v_add_f64 v[88:89], v[98:99], -v[104:105]
	v_add_f64 v[90:91], v[108:109], -v[102:103]
	;; [unrolled: 1-line block ×4, first 2 shown]
	v_sub_nc_u16 v98, v132, v110
	v_mad_u64_u32 v[96:97], null, 0x50, v96, s[10:11]
	ds_write_b128 v158, v[48:51]
	ds_write_b128 v158, v[52:55] offset:48
	ds_write_b128 v158, v[64:67] offset:16
	;; [unrolled: 1-line block ×5, first 2 shown]
	ds_write_b128 v156, v[56:59]
	ds_write_b128 v156, v[80:83] offset:16
	ds_write_b128 v156, v[84:87] offset:32
	;; [unrolled: 1-line block ×5, first 2 shown]
	v_and_b32_e32 v135, 0xff, v98
	s_waitcnt lgkmcnt(0)
	s_barrier
	buffer_gl0_inv
	global_load_dwordx4 v[76:79], v[96:97], off offset:32
	v_mad_u64_u32 v[60:61], null, 0x50, v135, s[10:11]
	s_clause 0x8
	global_load_dwordx4 v[80:83], v[96:97], off offset:64
	global_load_dwordx4 v[56:59], v[60:61], off offset:32
	;; [unrolled: 1-line block ×3, first 2 shown]
	global_load_dwordx4 v[52:55], v[96:97], off
	global_load_dwordx4 v[48:51], v[60:61], off
	global_load_dwordx4 v[72:75], v[96:97], off offset:16
	global_load_dwordx4 v[68:71], v[96:97], off offset:48
	global_load_dwordx4 v[64:67], v[60:61], off offset:16
	global_load_dwordx4 v[60:63], v[60:61], off offset:48
	ds_read_b128 v[88:91], v152 offset:2304
	ds_read_b128 v[94:97], v152 offset:3840
	;; [unrolled: 1-line block ×10, first 2 shown]
	s_waitcnt vmcnt(8) lgkmcnt(8)
	v_mul_f64 v[124:125], v[94:95], v[82:83]
	v_mul_f64 v[92:93], v[90:91], v[78:79]
	v_mul_f64 v[98:99], v[88:89], v[78:79]
	v_mul_f64 v[126:127], v[96:97], v[82:83]
	s_waitcnt vmcnt(7) lgkmcnt(7)
	v_mul_f64 v[128:129], v[104:105], v[58:59]
	v_mul_f64 v[130:131], v[102:103], v[58:59]
	s_waitcnt vmcnt(6) lgkmcnt(6)
	v_mul_f64 v[145:146], v[108:109], v[86:87]
	v_mul_f64 v[159:160], v[110:111], v[86:87]
	;; [unrolled: 3-line block ×4, first 2 shown]
	v_mul_f64 v[174:175], v[162:163], v[62:63]
	v_fma_f64 v[106:107], v[88:89], v[76:77], -v[92:93]
	v_fma_f64 v[100:101], v[90:91], v[76:77], v[98:99]
	v_fma_f64 v[92:93], v[96:97], v[80:81], v[124:125]
	v_fma_f64 v[94:95], v[94:95], v[80:81], -v[126:127]
	v_mul_f64 v[88:89], v[118:119], v[50:51]
	v_mul_f64 v[90:91], v[116:117], v[50:51]
	v_fma_f64 v[102:103], v[102:103], v[56:57], -v[128:129]
	v_fma_f64 v[104:105], v[104:105], v[56:57], v[130:131]
	v_fma_f64 v[96:97], v[110:111], v[84:85], v[145:146]
	v_fma_f64 v[98:99], v[108:109], v[84:85], -v[159:160]
	v_mul_f64 v[124:125], v[122:123], v[74:75]
	v_mul_f64 v[128:129], v[120:121], v[74:75]
	;; [unrolled: 1-line block ×5, first 2 shown]
	v_fma_f64 v[112:113], v[112:113], v[52:53], -v[166:167]
	v_fma_f64 v[108:109], v[114:115], v[52:53], v[168:169]
	v_fma_f64 v[114:115], v[162:163], v[60:61], -v[170:171]
	v_add_f64 v[166:167], v[100:101], v[92:93]
	v_add_f64 v[168:169], v[106:107], v[94:95]
	v_fma_f64 v[110:111], v[116:117], v[48:49], -v[88:89]
	v_fma_f64 v[116:117], v[118:119], v[48:49], v[90:91]
	ds_read_b128 v[88:91], v153
	v_add_f64 v[176:177], v[104:105], v[96:97]
	v_add_f64 v[178:179], v[102:103], v[98:99]
	v_fma_f64 v[126:127], v[120:121], v[72:73], -v[124:125]
	v_fma_f64 v[128:129], v[122:123], v[72:73], v[128:129]
	v_fma_f64 v[120:121], v[141:142], v[68:69], -v[130:131]
	v_fma_f64 v[118:119], v[143:144], v[68:69], v[145:146]
	v_fma_f64 v[124:125], v[137:138], v[64:65], -v[159:160]
	v_add_f64 v[141:142], v[100:101], -v[92:93]
	v_add_f64 v[143:144], v[106:107], -v[94:95]
	v_fma_f64 v[130:131], v[139:140], v[64:65], v[172:173]
	v_fma_f64 v[122:123], v[164:165], v[60:61], v[174:175]
	v_add_f64 v[163:164], v[104:105], -v[96:97]
	v_add_nc_u32_e32 v137, -12, v151
	v_add_f64 v[106:107], v[112:113], v[106:107]
	v_add_f64 v[100:101], v[108:109], v[100:101]
	v_fma_f64 v[145:146], v[166:167], -0.5, v[108:109]
	v_fma_f64 v[159:160], v[168:169], -0.5, v[112:113]
	v_add_f64 v[165:166], v[102:103], -v[98:99]
	v_cndmask_b32_e32 v162, v137, v132, vcc_lo
	ds_read_b128 v[137:140], v152 offset:384
	v_add_f64 v[102:103], v[110:111], v[102:103]
	v_fma_f64 v[167:168], v[176:177], -0.5, v[116:117]
	v_fma_f64 v[169:170], v[178:179], -0.5, v[110:111]
	s_waitcnt lgkmcnt(1)
	v_add_f64 v[171:172], v[88:89], v[126:127]
	v_add_f64 v[112:113], v[90:91], v[128:129]
	;; [unrolled: 1-line block ×5, first 2 shown]
	v_add_f64 v[128:129], v[128:129], -v[118:119]
	v_add_f64 v[126:127], v[126:127], -v[120:121]
	v_add_f64 v[104:105], v[116:117], v[104:105]
	v_add_f64 v[116:117], v[124:125], -v[114:115]
	v_add_f64 v[110:111], v[130:131], -v[122:123]
	s_waitcnt lgkmcnt(0)
	v_add_f64 v[94:95], v[106:107], v[94:95]
	v_add_f64 v[100:101], v[100:101], v[92:93]
	s_barrier
	v_fma_f64 v[177:178], v[143:144], s[8:9], v[145:146]
	v_fma_f64 v[179:180], v[141:142], s[8:9], v[159:160]
	;; [unrolled: 1-line block ×4, first 2 shown]
	v_add_f64 v[145:146], v[130:131], v[122:123]
	v_add_f64 v[108:109], v[137:138], v[124:125]
	v_fma_f64 v[159:160], v[165:166], s[8:9], v[167:168]
	v_fma_f64 v[181:182], v[163:164], s[8:9], v[169:170]
	;; [unrolled: 1-line block ×4, first 2 shown]
	v_add_f64 v[167:168], v[139:140], v[130:131]
	v_fma_f64 v[88:89], v[132:133], -0.5, v[88:89]
	v_fma_f64 v[90:91], v[173:174], -0.5, v[90:91]
	;; [unrolled: 1-line block ×3, first 2 shown]
	v_add_f64 v[120:121], v[171:172], v[120:121]
	v_add_f64 v[112:113], v[112:113], v[118:119]
	;; [unrolled: 1-line block ×4, first 2 shown]
	buffer_gl0_inv
	v_mul_f64 v[124:125], v[177:178], s[6:7]
	v_mul_f64 v[130:131], v[179:180], -0.5
	v_mul_f64 v[132:133], v[141:142], s[8:9]
	v_mul_f64 v[169:170], v[143:144], -0.5
	v_fma_f64 v[138:139], v[145:146], -0.5, v[139:140]
	v_add_f64 v[106:107], v[108:109], v[114:115]
	v_mul_f64 v[118:119], v[159:160], s[6:7]
	v_mul_f64 v[145:146], v[181:182], -0.5
	v_mul_f64 v[171:172], v[163:164], s[8:9]
	v_mul_f64 v[173:174], v[165:166], -0.5
	v_add_f64 v[108:109], v[167:168], v[122:123]
	v_fma_f64 v[114:115], v[128:129], s[6:7], v[88:89]
	v_fma_f64 v[122:123], v[128:129], s[8:9], v[88:89]
	;; [unrolled: 1-line block ×4, first 2 shown]
	v_add_f64 v[88:89], v[120:121], v[94:95]
	v_add_f64 v[90:91], v[112:113], v[100:101]
	v_add_f64 v[92:93], v[120:121], -v[94:95]
	v_add_f64 v[94:95], v[112:113], -v[100:101]
	v_fma_f64 v[124:125], v[141:142], 0.5, v[124:125]
	v_fma_f64 v[130:131], v[143:144], s[6:7], v[130:131]
	v_fma_f64 v[132:133], v[177:178], 0.5, v[132:133]
	v_fma_f64 v[140:141], v[179:180], s[8:9], v[169:170]
	v_fma_f64 v[142:143], v[110:111], s[6:7], v[136:137]
	;; [unrolled: 1-line block ×3, first 2 shown]
	v_fma_f64 v[163:164], v[163:164], 0.5, v[118:119]
	v_fma_f64 v[144:145], v[165:166], s[6:7], v[145:146]
	v_fma_f64 v[146:147], v[159:160], 0.5, v[171:172]
	v_fma_f64 v[136:137], v[110:111], s[8:9], v[136:137]
	v_fma_f64 v[138:139], v[116:117], s[6:7], v[138:139]
	v_fma_f64 v[159:160], v[181:182], s[8:9], v[173:174]
	v_add_f64 v[96:97], v[106:107], v[102:103]
	v_add_f64 v[98:99], v[108:109], v[104:105]
	v_add_f64 v[100:101], v[106:107], -v[102:103]
	v_add_f64 v[102:103], v[108:109], -v[104:105]
	v_and_b32_e32 v165, 0xff, v184
	v_add_f64 v[104:105], v[114:115], v[124:125]
	v_add_f64 v[108:109], v[122:123], v[130:131]
	;; [unrolled: 1-line block ×4, first 2 shown]
	v_add_f64 v[112:113], v[114:115], -v[124:125]
	v_add_f64 v[114:115], v[128:129], -v[132:133]
	;; [unrolled: 1-line block ×4, first 2 shown]
	v_add_f64 v[120:121], v[142:143], v[163:164]
	v_add_f64 v[122:123], v[167:168], v[146:147]
	;; [unrolled: 1-line block ×4, first 2 shown]
	v_add_f64 v[128:129], v[142:143], -v[163:164]
	v_add_f64 v[130:131], v[167:168], -v[146:147]
	;; [unrolled: 1-line block ×4, first 2 shown]
	v_mad_u64_u32 v[163:164], null, v151, 48, s[10:11]
	v_add_nc_u32_e32 v132, v134, v135
	v_add_lshl_u32 v160, v161, v165, 4
	v_mul_i32_i24_e32 v133, 48, v162
	v_mul_hi_i32_i24_e32 v134, 48, v162
	v_add_lshl_u32 v159, v161, v132, 4
	ds_write_b128 v160, v[88:91]
	ds_write_b128 v160, v[92:95] offset:288
	ds_write_b128 v160, v[104:107] offset:96
	;; [unrolled: 1-line block ×5, first 2 shown]
	ds_write_b128 v159, v[96:99]
	ds_write_b128 v159, v[120:123] offset:96
	ds_write_b128 v159, v[124:127] offset:192
	;; [unrolled: 1-line block ×5, first 2 shown]
	s_waitcnt lgkmcnt(0)
	s_barrier
	buffer_gl0_inv
	global_load_dwordx4 v[116:119], v[163:164], off offset:480
	v_add_co_u32 v88, vcc_lo, s10, v133
	v_add_co_ci_u32_e32 v89, vcc_lo, s11, v134, vcc_lo
	s_clause 0x7
	global_load_dwordx4 v[120:123], v[163:164], off offset:496
	global_load_dwordx4 v[112:115], v[163:164], off offset:512
	;; [unrolled: 1-line block ×8, first 2 shown]
	ds_read_b128 v[88:91], v152 offset:1152
	ds_read_b128 v[92:95], v152 offset:2304
	;; [unrolled: 1-line block ×10, first 2 shown]
	ds_read_b128 v[179:182], v153
	ds_read_b128 v[183:186], v152 offset:384
	v_cmp_lt_u16_e32 vcc_lo, 11, v157
	s_waitcnt vmcnt(0) lgkmcnt(0)
	s_barrier
	buffer_gl0_inv
	v_cndmask_b32_e64 v157, 0, 0x90, vcc_lo
	v_add_nc_u32_e32 v157, v162, v157
	v_add_lshl_u32 v157, v161, v157, 4
	v_mul_f64 v[191:192], v[94:95], v[122:123]
	v_mul_f64 v[187:188], v[90:91], v[118:119]
	;; [unrolled: 1-line block ×18, first 2 shown]
	v_fma_f64 v[92:93], v[92:93], v[120:121], -v[191:192]
	v_fma_f64 v[88:89], v[88:89], v[116:117], -v[187:188]
	v_fma_f64 v[90:91], v[90:91], v[116:117], v[189:190]
	v_fma_f64 v[94:95], v[94:95], v[120:121], v[193:194]
	v_fma_f64 v[96:97], v[96:97], v[112:113], -v[195:196]
	v_fma_f64 v[98:99], v[98:99], v[112:113], v[197:198]
	v_fma_f64 v[100:101], v[100:101], v[132:133], -v[199:200]
	;; [unrolled: 2-line block ×7, first 2 shown]
	v_fma_f64 v[173:174], v[173:174], v[136:137], v[221:222]
	v_add_f64 v[187:188], v[179:180], -v[92:93]
	v_add_f64 v[189:190], v[181:182], -v[94:95]
	;; [unrolled: 1-line block ×12, first 2 shown]
	v_fma_f64 v[167:168], v[179:180], 2.0, -v[187:188]
	v_fma_f64 v[169:170], v[181:182], 2.0, -v[189:190]
	v_fma_f64 v[108:109], v[88:89], 2.0, -v[92:93]
	v_fma_f64 v[110:111], v[90:91], 2.0, -v[94:95]
	v_add_f64 v[88:89], v[187:188], -v[94:95]
	v_add_f64 v[90:91], v[189:190], v[92:93]
	v_fma_f64 v[179:180], v[183:184], 2.0, -v[191:192]
	v_fma_f64 v[181:182], v[185:186], 2.0, -v[193:194]
	v_fma_f64 v[100:101], v[100:101], 2.0, -v[98:99]
	v_fma_f64 v[102:103], v[102:103], 2.0, -v[96:97]
	v_add_f64 v[96:97], v[191:192], -v[96:97]
	v_add_f64 v[98:99], v[193:194], v[98:99]
	;; [unrolled: 6-line block ×3, first 2 shown]
	v_add_f64 v[92:93], v[167:168], -v[108:109]
	v_add_f64 v[94:95], v[169:170], -v[110:111]
	;; [unrolled: 1-line block ×4, first 2 shown]
	v_fma_f64 v[171:172], v[191:192], 2.0, -v[96:97]
	v_fma_f64 v[173:174], v[193:194], 2.0, -v[98:99]
	v_add_f64 v[108:109], v[183:184], -v[163:164]
	v_add_f64 v[110:111], v[185:186], -v[165:166]
	v_fma_f64 v[163:164], v[187:188], 2.0, -v[88:89]
	v_fma_f64 v[165:166], v[189:190], 2.0, -v[90:91]
	v_add_co_u32 v189, s10, s10, v154
	v_add_co_ci_u32_e64 v190, null, s11, 0, s10
	v_add_co_u32 v187, vcc_lo, 0x800, v189
	v_fma_f64 v[167:168], v[167:168], 2.0, -v[92:93]
	v_fma_f64 v[169:170], v[169:170], 2.0, -v[94:95]
	v_add_co_ci_u32_e32 v188, vcc_lo, 0, v190, vcc_lo
	v_fma_f64 v[175:176], v[179:180], 2.0, -v[100:101]
	v_fma_f64 v[177:178], v[181:182], 2.0, -v[102:103]
	;; [unrolled: 1-line block ×6, first 2 shown]
	ds_write_b128 v153, v[167:170]
	ds_write_b128 v152, v[163:166] offset:576
	ds_write_b128 v152, v[92:95] offset:1152
	;; [unrolled: 1-line block ×3, first 2 shown]
	ds_write_b128 v157, v[175:178]
	ds_write_b128 v157, v[171:174] offset:576
	ds_write_b128 v157, v[100:103] offset:1152
	;; [unrolled: 1-line block ×7, first 2 shown]
	s_waitcnt lgkmcnt(0)
	s_barrier
	buffer_gl0_inv
	s_clause 0x2
	global_load_dwordx4 v[88:91], v[187:188], off offset:160
	global_load_dwordx4 v[92:95], v[187:188], off offset:544
	;; [unrolled: 1-line block ×3, first 2 shown]
	v_add_co_u32 v100, vcc_lo, 0x1000, v189
	v_add_co_ci_u32_e32 v101, vcc_lo, 0, v190, vcc_lo
	s_clause 0x2
	global_load_dwordx4 v[108:111], v[187:188], off offset:1312
	global_load_dwordx4 v[104:107], v[187:188], off offset:1696
	;; [unrolled: 1-line block ×3, first 2 shown]
	ds_read_b128 v[161:164], v152 offset:2304
	ds_read_b128 v[165:168], v152 offset:2688
	;; [unrolled: 1-line block ×6, first 2 shown]
	ds_read_b128 v[185:188], v153
	ds_read_b128 v[189:192], v152 offset:384
	ds_read_b128 v[193:196], v152 offset:768
	;; [unrolled: 1-line block ×3, first 2 shown]
	s_waitcnt vmcnt(5) lgkmcnt(9)
	v_mul_f64 v[201:202], v[163:164], v[90:91]
	v_mul_f64 v[203:204], v[161:162], v[90:91]
	s_waitcnt vmcnt(4) lgkmcnt(8)
	v_mul_f64 v[205:206], v[167:168], v[94:95]
	v_mul_f64 v[207:208], v[165:166], v[94:95]
	;; [unrolled: 3-line block ×6, first 2 shown]
	v_fma_f64 v[201:202], v[161:162], v[88:89], -v[201:202]
	v_fma_f64 v[203:204], v[163:164], v[88:89], v[203:204]
	v_fma_f64 v[205:206], v[165:166], v[92:93], -v[205:206]
	v_fma_f64 v[207:208], v[167:168], v[92:93], v[207:208]
	;; [unrolled: 2-line block ×5, first 2 shown]
	v_fma_f64 v[221:222], v[181:182], v[100:101], -v[221:222]
	ds_read_b128 v[161:164], v152 offset:1536
	ds_read_b128 v[165:168], v152 offset:1920
	v_fma_f64 v[223:224], v[183:184], v[100:101], v[223:224]
	s_waitcnt lgkmcnt(5)
	v_add_f64 v[169:170], v[185:186], -v[201:202]
	v_add_f64 v[171:172], v[187:188], -v[203:204]
	s_waitcnt lgkmcnt(4)
	v_add_f64 v[173:174], v[189:190], -v[205:206]
	v_add_f64 v[175:176], v[191:192], -v[207:208]
	;; [unrolled: 3-line block ×6, first 2 shown]
	v_fma_f64 v[185:186], v[185:186], 2.0, -v[169:170]
	v_fma_f64 v[187:188], v[187:188], 2.0, -v[171:172]
	;; [unrolled: 1-line block ×12, first 2 shown]
	ds_write_b128 v153, v[185:188]
	ds_write_b128 v152, v[169:172] offset:2304
	ds_write_b128 v152, v[189:192] offset:384
	;; [unrolled: 1-line block ×11, first 2 shown]
	s_waitcnt lgkmcnt(0)
	s_barrier
	buffer_gl0_inv
	s_clause 0x1
	global_load_dwordx4 v[161:164], v154, s[14:15]
	global_load_dwordx4 v[165:168], v154, s[14:15] offset:768
	v_add_co_u32 v203, s10, s14, v154
	v_add_co_ci_u32_e64 v204, null, s15, 0, s10
	global_load_dwordx4 v[169:172], v154, s[14:15] offset:1536
	v_add_co_u32 v201, vcc_lo, 0x800, v203
	v_add_co_ci_u32_e32 v202, vcc_lo, 0, v204, vcc_lo
	s_clause 0x6
	global_load_dwordx4 v[173:176], v[201:202], off offset:256
	global_load_dwordx4 v[177:180], v155, s[14:15]
	global_load_dwordx4 v[181:184], v[201:202], off offset:1792
	global_load_dwordx4 v[185:188], v154, s[14:15] offset:384
	global_load_dwordx4 v[189:192], v154, s[14:15] offset:1152
	;; [unrolled: 1-line block ×3, first 2 shown]
	global_load_dwordx4 v[197:200], v[201:202], off offset:640
	v_add_co_u32 v154, vcc_lo, 0x1000, v203
	v_add_co_ci_u32_e32 v155, vcc_lo, 0, v204, vcc_lo
	s_clause 0x1
	global_load_dwordx4 v[201:204], v[201:202], off offset:1408
	global_load_dwordx4 v[205:208], v[154:155], off offset:128
	ds_read_b128 v[209:212], v153
	s_waitcnt vmcnt(11) lgkmcnt(0)
	v_mul_f64 v[154:155], v[211:212], v[163:164]
	v_mul_f64 v[163:164], v[209:210], v[163:164]
	v_fma_f64 v[209:210], v[209:210], v[161:162], -v[154:155]
	v_fma_f64 v[211:212], v[211:212], v[161:162], v[163:164]
	ds_write_b128 v153, v[209:212]
	ds_read_b128 v[161:164], v152 offset:768
	ds_read_b128 v[209:212], v152 offset:1536
	;; [unrolled: 1-line block ×8, first 2 shown]
	s_waitcnt vmcnt(10) lgkmcnt(7)
	v_mul_f64 v[154:155], v[163:164], v[167:168]
	s_waitcnt vmcnt(9) lgkmcnt(6)
	v_mul_f64 v[237:238], v[211:212], v[171:172]
	v_mul_f64 v[167:168], v[161:162], v[167:168]
	v_mul_f64 v[171:172], v[209:210], v[171:172]
	s_waitcnt vmcnt(8) lgkmcnt(5)
	v_mul_f64 v[239:240], v[215:216], v[175:176]
	v_mul_f64 v[175:176], v[213:214], v[175:176]
	s_waitcnt vmcnt(4) lgkmcnt(2)
	v_mul_f64 v[241:242], v[227:228], v[191:192]
	v_fma_f64 v[161:162], v[161:162], v[165:166], -v[154:155]
	v_mul_f64 v[154:155], v[223:224], v[179:180]
	v_mul_f64 v[179:180], v[221:222], v[179:180]
	v_fma_f64 v[209:210], v[209:210], v[169:170], -v[237:238]
	s_waitcnt lgkmcnt(1)
	v_mul_f64 v[237:238], v[231:232], v[183:184]
	v_fma_f64 v[163:164], v[163:164], v[165:166], v[167:168]
	ds_read_b128 v[165:168], v152 offset:2688
	v_mul_f64 v[183:184], v[229:230], v[183:184]
	v_fma_f64 v[211:212], v[211:212], v[169:170], v[171:172]
	ds_read_b128 v[169:172], v152 offset:3456
	v_fma_f64 v[213:214], v[213:214], v[173:174], -v[239:240]
	v_fma_f64 v[215:216], v[215:216], v[173:174], v[175:176]
	ds_read_b128 v[173:176], v152 offset:4224
	v_mul_f64 v[239:240], v[219:220], v[187:188]
	v_mul_f64 v[187:188], v[217:218], v[187:188]
	v_fma_f64 v[221:222], v[221:222], v[177:178], -v[154:155]
	v_mul_f64 v[154:155], v[225:226], v[191:192]
	s_waitcnt vmcnt(3) lgkmcnt(3)
	v_mul_f64 v[191:192], v[235:236], v[195:196]
	v_mul_f64 v[195:196], v[233:234], v[195:196]
	s_waitcnt vmcnt(2) lgkmcnt(2)
	v_mul_f64 v[243:244], v[167:168], v[199:200]
	v_mul_f64 v[199:200], v[165:166], v[199:200]
	v_fma_f64 v[223:224], v[223:224], v[177:178], v[179:180]
	v_fma_f64 v[177:178], v[229:230], v[181:182], -v[237:238]
	s_waitcnt vmcnt(1) lgkmcnt(1)
	v_mul_f64 v[229:230], v[171:172], v[203:204]
	v_mul_f64 v[203:204], v[169:170], v[203:204]
	v_fma_f64 v[179:180], v[231:232], v[181:182], v[183:184]
	s_waitcnt vmcnt(0) lgkmcnt(0)
	v_mul_f64 v[231:232], v[175:176], v[207:208]
	v_mul_f64 v[207:208], v[173:174], v[207:208]
	v_fma_f64 v[181:182], v[217:218], v[185:186], -v[239:240]
	v_fma_f64 v[183:184], v[219:220], v[185:186], v[187:188]
	v_fma_f64 v[185:186], v[225:226], v[189:190], -v[241:242]
	v_fma_f64 v[187:188], v[227:228], v[189:190], v[154:155]
	v_fma_f64 v[189:190], v[233:234], v[193:194], -v[191:192]
	v_fma_f64 v[191:192], v[235:236], v[193:194], v[195:196]
	v_fma_f64 v[165:166], v[165:166], v[197:198], -v[243:244]
	v_fma_f64 v[167:168], v[167:168], v[197:198], v[199:200]
	v_fma_f64 v[169:170], v[169:170], v[201:202], -v[229:230]
	v_fma_f64 v[171:172], v[171:172], v[201:202], v[203:204]
	v_fma_f64 v[173:174], v[173:174], v[205:206], -v[231:232]
	v_fma_f64 v[175:176], v[175:176], v[205:206], v[207:208]
	ds_write_b128 v152, v[161:164] offset:768
	ds_write_b128 v152, v[209:212] offset:1536
	;; [unrolled: 1-line block ×11, first 2 shown]
	s_waitcnt lgkmcnt(0)
	s_barrier
	buffer_gl0_inv
	ds_read_b128 v[161:164], v152 offset:3840
	ds_read_b128 v[165:168], v152 offset:2304
	;; [unrolled: 1-line block ×6, first 2 shown]
	ds_read_b128 v[185:188], v153
	ds_read_b128 v[189:192], v152 offset:1536
	ds_read_b128 v[193:196], v152 offset:3072
	;; [unrolled: 1-line block ×4, first 2 shown]
	s_waitcnt lgkmcnt(9)
	v_add_f64 v[154:155], v[167:168], v[163:164]
	v_add_f64 v[209:210], v[165:166], v[161:162]
	s_waitcnt lgkmcnt(7)
	v_add_f64 v[205:206], v[171:172], v[175:176]
	v_add_f64 v[211:212], v[165:166], -v[161:162]
	v_add_f64 v[213:214], v[169:170], v[173:174]
	v_add_f64 v[215:216], v[169:170], -v[173:174]
	s_waitcnt lgkmcnt(3)
	v_add_f64 v[219:220], v[185:186], v[189:190]
	v_add_f64 v[221:222], v[187:188], v[191:192]
	s_waitcnt lgkmcnt(2)
	v_add_f64 v[223:224], v[189:190], v[193:194]
	v_add_f64 v[225:226], v[191:192], -v[195:196]
	v_add_f64 v[191:192], v[191:192], v[195:196]
	v_add_f64 v[227:228], v[167:168], -v[163:164]
	s_waitcnt lgkmcnt(0)
	v_add_f64 v[231:232], v[197:198], v[201:202]
	v_add_f64 v[165:166], v[177:178], v[165:166]
	;; [unrolled: 1-line block ×3, first 2 shown]
	v_add_f64 v[189:190], v[189:190], -v[193:194]
	v_add_f64 v[169:170], v[181:182], v[169:170]
	v_fma_f64 v[154:155], v[154:155], -0.5, v[179:180]
	v_fma_f64 v[209:210], v[209:210], -0.5, v[177:178]
	;; [unrolled: 1-line block ×3, first 2 shown]
	ds_read_b128 v[205:208], v152 offset:384
	v_add_f64 v[177:178], v[199:200], v[203:204]
	v_fma_f64 v[213:214], v[213:214], -0.5, v[181:182]
	v_add_f64 v[181:182], v[219:220], v[193:194]
	s_waitcnt lgkmcnt(0)
	v_fma_f64 v[185:186], v[223:224], -0.5, v[185:186]
	s_barrier
	v_fma_f64 v[187:188], v[191:192], -0.5, v[187:188]
	buffer_gl0_inv
	v_add_f64 v[165:166], v[165:166], v[161:162]
	v_add_f64 v[167:168], v[167:168], v[163:164]
	;; [unrolled: 1-line block ×3, first 2 shown]
	v_fma_f64 v[229:230], v[211:212], s[6:7], v[154:155]
	v_fma_f64 v[154:155], v[211:212], s[8:9], v[154:155]
	v_add_f64 v[211:212], v[171:172], -v[175:176]
	v_fma_f64 v[233:234], v[215:216], s[6:7], v[217:218]
	v_fma_f64 v[215:216], v[215:216], s[8:9], v[217:218]
	v_add_f64 v[179:180], v[205:206], v[197:198]
	v_add_f64 v[217:218], v[207:208], v[199:200]
	;; [unrolled: 1-line block ×4, first 2 shown]
	v_fma_f64 v[191:192], v[227:228], s[8:9], v[209:210]
	v_fma_f64 v[209:210], v[227:228], s[6:7], v[209:210]
	v_add_f64 v[199:200], v[199:200], -v[203:204]
	v_add_f64 v[197:198], v[197:198], -v[201:202]
	v_fma_f64 v[205:206], v[231:232], -0.5, v[205:206]
	v_fma_f64 v[177:178], v[177:178], -0.5, v[207:208]
	v_add_f64 v[161:162], v[181:182], v[165:166]
	v_add_f64 v[165:166], v[181:182], -v[165:166]
	v_mul_f64 v[193:194], v[229:230], s[8:9]
	v_mul_f64 v[195:196], v[229:230], 0.5
	v_mul_f64 v[219:220], v[154:155], s[8:9]
	v_mul_f64 v[154:155], v[154:155], -0.5
	v_fma_f64 v[207:208], v[211:212], s[8:9], v[213:214]
	v_mul_f64 v[221:222], v[233:234], s[8:9]
	v_mul_f64 v[223:224], v[233:234], 0.5
	v_fma_f64 v[211:212], v[211:212], s[6:7], v[213:214]
	v_mul_f64 v[213:214], v[215:216], s[8:9]
	v_mul_f64 v[215:216], v[215:216], -0.5
	v_add_f64 v[179:180], v[179:180], v[201:202]
	v_add_f64 v[201:202], v[217:218], v[203:204]
	v_fma_f64 v[203:204], v[225:226], s[8:9], v[185:186]
	v_fma_f64 v[217:218], v[189:190], s[6:7], v[187:188]
	;; [unrolled: 1-line block ×3, first 2 shown]
	v_add_f64 v[175:176], v[171:172], v[175:176]
	v_fma_f64 v[227:228], v[199:200], s[8:9], v[205:206]
	v_fma_f64 v[205:206], v[199:200], s[6:7], v[205:206]
	v_add_f64 v[163:164], v[183:184], v[167:168]
	v_add_f64 v[167:168], v[183:184], -v[167:168]
	v_fma_f64 v[185:186], v[191:192], 0.5, v[193:194]
	v_fma_f64 v[191:192], v[191:192], s[6:7], v[195:196]
	v_fma_f64 v[193:194], v[189:190], s[8:9], v[187:188]
	v_fma_f64 v[189:190], v[209:210], -0.5, v[219:220]
	v_fma_f64 v[154:155], v[209:210], s[6:7], v[154:155]
	v_fma_f64 v[209:210], v[197:198], s[6:7], v[177:178]
	v_fma_f64 v[199:200], v[207:208], 0.5, v[221:222]
	v_fma_f64 v[207:208], v[207:208], s[6:7], v[223:224]
	v_fma_f64 v[219:220], v[197:198], s[8:9], v[177:178]
	v_fma_f64 v[213:214], v[211:212], -0.5, v[213:214]
	v_fma_f64 v[211:212], v[211:212], s[6:7], v[215:216]
	v_add_f64 v[169:170], v[179:180], v[173:174]
	v_add_f64 v[173:174], v[179:180], -v[173:174]
	v_add_f64 v[171:172], v[201:202], v[175:176]
	v_add_f64 v[175:176], v[201:202], -v[175:176]
	v_add_f64 v[177:178], v[203:204], v[185:186]
	v_add_f64 v[179:180], v[217:218], v[191:192]
	v_add_f64 v[181:182], v[203:204], -v[185:186]
	v_add_f64 v[185:186], v[225:226], v[189:190]
	v_add_f64 v[187:188], v[193:194], v[154:155]
	v_add_f64 v[183:184], v[217:218], -v[191:192]
	v_add_f64 v[189:190], v[225:226], -v[189:190]
	v_add_f64 v[191:192], v[193:194], -v[154:155]
	v_add_f64 v[193:194], v[227:228], v[199:200]
	v_add_f64 v[195:196], v[209:210], v[207:208]
	;; [unrolled: 1-line block ×4, first 2 shown]
	v_add_f64 v[197:198], v[227:228], -v[199:200]
	v_add_f64 v[199:200], v[209:210], -v[207:208]
	;; [unrolled: 1-line block ×4, first 2 shown]
	ds_write_b128 v158, v[161:164]
	ds_write_b128 v158, v[165:168] offset:48
	ds_write_b128 v158, v[177:180] offset:16
	;; [unrolled: 1-line block ×5, first 2 shown]
	ds_write_b128 v156, v[169:172]
	ds_write_b128 v156, v[193:196] offset:16
	ds_write_b128 v156, v[201:204] offset:32
	;; [unrolled: 1-line block ×5, first 2 shown]
	s_waitcnt lgkmcnt(0)
	s_barrier
	buffer_gl0_inv
	ds_read_b128 v[161:164], v152 offset:2304
	ds_read_b128 v[165:168], v152 offset:3840
	ds_read_b128 v[169:172], v152 offset:2688
	ds_read_b128 v[173:176], v152 offset:4224
	ds_read_b128 v[177:180], v152 offset:768
	ds_read_b128 v[181:184], v152 offset:1152
	ds_read_b128 v[185:188], v152 offset:1536
	ds_read_b128 v[189:192], v152 offset:3072
	ds_read_b128 v[193:196], v152 offset:1920
	ds_read_b128 v[197:200], v152 offset:3456
	s_waitcnt lgkmcnt(9)
	v_mul_f64 v[154:155], v[78:79], v[161:162]
	s_waitcnt lgkmcnt(8)
	v_mul_f64 v[201:202], v[82:83], v[165:166]
	;; [unrolled: 2-line block ×4, first 2 shown]
	v_mul_f64 v[78:79], v[78:79], v[163:164]
	v_mul_f64 v[82:83], v[82:83], v[167:168]
	s_waitcnt lgkmcnt(5)
	v_mul_f64 v[207:208], v[54:55], v[177:178]
	v_mul_f64 v[58:59], v[58:59], v[171:172]
	;; [unrolled: 1-line block ×4, first 2 shown]
	s_waitcnt lgkmcnt(0)
	v_mul_f64 v[209:210], v[62:63], v[199:200]
	v_mul_f64 v[62:63], v[62:63], v[197:198]
	v_fma_f64 v[154:155], v[76:77], v[163:164], -v[154:155]
	v_fma_f64 v[163:164], v[80:81], v[167:168], -v[201:202]
	v_mul_f64 v[167:168], v[50:51], v[181:182]
	v_fma_f64 v[171:172], v[56:57], v[171:172], -v[203:204]
	v_fma_f64 v[175:176], v[84:85], v[175:176], -v[205:206]
	v_mul_f64 v[201:202], v[74:75], v[187:188]
	v_mul_f64 v[74:75], v[74:75], v[185:186]
	;; [unrolled: 1-line block ×6, first 2 shown]
	v_fma_f64 v[76:77], v[76:77], v[161:162], v[78:79]
	v_fma_f64 v[78:79], v[80:81], v[165:166], v[82:83]
	v_fma_f64 v[80:81], v[52:53], v[179:180], -v[207:208]
	v_mul_f64 v[161:162], v[50:51], v[183:184]
	v_fma_f64 v[58:59], v[56:57], v[169:170], v[58:59]
	v_fma_f64 v[84:85], v[84:85], v[173:174], v[86:87]
	v_add_f64 v[82:83], v[154:155], v[163:164]
	v_fma_f64 v[86:87], v[48:49], v[183:184], -v[167:168]
	v_add_f64 v[165:166], v[171:172], v[175:176]
	v_fma_f64 v[167:168], v[72:73], v[185:186], v[201:202]
	v_fma_f64 v[72:73], v[72:73], v[187:188], -v[74:75]
	v_fma_f64 v[74:75], v[68:69], v[189:190], v[203:204]
	v_fma_f64 v[68:69], v[68:69], v[191:192], -v[70:71]
	;; [unrolled: 2-line block ×4, first 2 shown]
	v_fma_f64 v[62:63], v[52:53], v[177:178], v[54:55]
	v_add_f64 v[169:170], v[76:77], v[78:79]
	v_add_f64 v[173:174], v[76:77], -v[78:79]
	v_fma_f64 v[48:49], v[48:49], v[181:182], v[161:162]
	v_add_f64 v[161:162], v[58:59], v[84:85]
	v_add_f64 v[177:178], v[58:59], -v[84:85]
	ds_read_b128 v[50:53], v153
	ds_read_b128 v[54:57], v152 offset:384
	v_add_f64 v[189:190], v[154:155], -v[163:164]
	s_waitcnt lgkmcnt(0)
	v_fma_f64 v[82:83], v[82:83], -0.5, v[80:81]
	s_barrier
	buffer_gl0_inv
	v_fma_f64 v[165:166], v[165:166], -0.5, v[86:87]
	v_add_f64 v[179:180], v[167:168], v[74:75]
	v_add_f64 v[181:182], v[72:73], v[68:69]
	;; [unrolled: 1-line block ×4, first 2 shown]
	v_fma_f64 v[169:170], v[169:170], -0.5, v[62:63]
	v_add_f64 v[62:63], v[62:63], v[76:77]
	v_add_f64 v[76:77], v[171:172], -v[175:176]
	v_fma_f64 v[161:162], v[161:162], -0.5, v[48:49]
	v_add_f64 v[187:188], v[50:51], v[167:168]
	v_add_f64 v[191:192], v[52:53], v[72:73]
	;; [unrolled: 1-line block ×5, first 2 shown]
	v_fma_f64 v[193:194], v[173:174], s[6:7], v[82:83]
	v_fma_f64 v[82:83], v[173:174], s[8:9], v[82:83]
	v_add_f64 v[173:174], v[54:55], v[70:71]
	v_fma_f64 v[197:198], v[177:178], s[6:7], v[165:166]
	v_fma_f64 v[165:166], v[177:178], s[8:9], v[165:166]
	v_add_f64 v[167:168], v[167:168], -v[74:75]
	v_add_f64 v[80:81], v[86:87], v[171:172]
	v_add_f64 v[72:73], v[72:73], -v[68:69]
	v_fma_f64 v[50:51], v[179:180], -0.5, v[50:51]
	v_fma_f64 v[52:53], v[181:182], -0.5, v[52:53]
	v_add_f64 v[64:65], v[64:65], -v[60:61]
	v_add_f64 v[70:71], v[70:71], -v[66:67]
	v_fma_f64 v[54:55], v[183:184], -0.5, v[54:55]
	v_fma_f64 v[86:87], v[189:190], s[8:9], v[169:170]
	v_fma_f64 v[154:155], v[189:190], s[6:7], v[169:170]
	v_fma_f64 v[56:57], v[185:186], -0.5, v[56:57]
	v_fma_f64 v[179:180], v[76:77], s[8:9], v[161:162]
	v_fma_f64 v[76:77], v[76:77], s[6:7], v[161:162]
	v_add_f64 v[74:75], v[187:188], v[74:75]
	v_add_f64 v[68:69], v[191:192], v[68:69]
	;; [unrolled: 1-line block ×4, first 2 shown]
	v_mul_f64 v[169:170], v[193:194], s[8:9]
	v_mul_f64 v[177:178], v[193:194], 0.5
	v_mul_f64 v[171:172], v[82:83], s[8:9]
	v_mul_f64 v[82:83], v[82:83], -0.5
	v_mul_f64 v[161:162], v[197:198], s[8:9]
	v_mul_f64 v[183:184], v[197:198], 0.5
	v_mul_f64 v[181:182], v[165:166], s[8:9]
	v_mul_f64 v[165:166], v[165:166], -0.5
	v_add_f64 v[66:67], v[173:174], v[66:67]
	v_add_f64 v[78:79], v[195:196], v[60:61]
	;; [unrolled: 1-line block ×3, first 2 shown]
	v_fma_f64 v[84:85], v[72:73], s[8:9], v[50:51]
	v_fma_f64 v[163:164], v[72:73], s[6:7], v[50:51]
	;; [unrolled: 1-line block ×4, first 2 shown]
	v_add_f64 v[80:81], v[80:81], v[175:176]
	v_fma_f64 v[175:176], v[70:71], s[6:7], v[56:57]
	v_add_f64 v[48:49], v[74:75], v[62:63]
	v_add_f64 v[50:51], v[68:69], v[58:59]
	v_fma_f64 v[72:73], v[86:87], 0.5, v[169:170]
	v_fma_f64 v[86:87], v[86:87], s[6:7], v[177:178]
	v_fma_f64 v[169:170], v[154:155], -0.5, v[171:172]
	v_fma_f64 v[82:83], v[154:155], s[6:7], v[82:83]
	v_fma_f64 v[154:155], v[64:65], s[8:9], v[54:55]
	v_fma_f64 v[161:162], v[179:180], 0.5, v[161:162]
	v_fma_f64 v[179:180], v[179:180], s[6:7], v[183:184]
	v_fma_f64 v[171:172], v[64:65], s[6:7], v[54:55]
	;; [unrolled: 1-line block ×3, first 2 shown]
	v_fma_f64 v[181:182], v[76:77], -0.5, v[181:182]
	v_fma_f64 v[183:184], v[76:77], s[6:7], v[165:166]
	v_add_f64 v[52:53], v[74:75], -v[62:63]
	v_add_f64 v[54:55], v[68:69], -v[58:59]
	v_add_f64 v[56:57], v[66:67], v[60:61]
	v_add_f64 v[60:61], v[66:67], -v[60:61]
	v_add_f64 v[58:59], v[78:79], v[80:81]
	v_add_f64 v[62:63], v[78:79], -v[80:81]
	s_mul_hi_u32 s6, s0, 0x300
	v_add_f64 v[64:65], v[84:85], v[72:73]
	v_add_f64 v[66:67], v[173:174], v[86:87]
	;; [unrolled: 1-line block ×4, first 2 shown]
	v_add_f64 v[72:73], v[84:85], -v[72:73]
	v_add_f64 v[74:75], v[173:174], -v[86:87]
	;; [unrolled: 1-line block ×4, first 2 shown]
	v_add_f64 v[80:81], v[154:155], v[161:162]
	v_add_f64 v[82:83], v[175:176], v[179:180]
	;; [unrolled: 1-line block ×4, first 2 shown]
	v_add_f64 v[161:162], v[154:155], -v[161:162]
	v_add_f64 v[163:164], v[175:176], -v[179:180]
	;; [unrolled: 1-line block ×4, first 2 shown]
	ds_write_b128 v160, v[48:51]
	ds_write_b128 v160, v[52:55] offset:288
	ds_write_b128 v160, v[64:67] offset:96
	;; [unrolled: 1-line block ×5, first 2 shown]
	ds_write_b128 v159, v[56:59]
	ds_write_b128 v159, v[80:83] offset:96
	ds_write_b128 v159, v[84:87] offset:192
	;; [unrolled: 1-line block ×5, first 2 shown]
	s_waitcnt lgkmcnt(0)
	s_barrier
	buffer_gl0_inv
	ds_read_b128 v[48:51], v152 offset:1152
	ds_read_b128 v[52:55], v152 offset:2304
	;; [unrolled: 1-line block ×10, first 2 shown]
	ds_read_b128 v[158:161], v153
	ds_read_b128 v[162:165], v152 offset:384
	s_waitcnt lgkmcnt(0)
	s_barrier
	buffer_gl0_inv
	v_mul_f64 v[154:155], v[118:119], v[50:51]
	v_mul_f64 v[118:119], v[118:119], v[48:49]
	;; [unrolled: 1-line block ×18, first 2 shown]
	v_fma_f64 v[154:155], v[116:117], v[48:49], v[154:155]
	v_fma_f64 v[116:117], v[116:117], v[50:51], -v[118:119]
	v_fma_f64 v[48:49], v[120:121], v[52:53], v[166:167]
	v_fma_f64 v[52:53], v[120:121], v[54:55], -v[122:123]
	;; [unrolled: 2-line block ×9, first 2 shown]
	v_mad_u64_u32 v[128:129], null, s2, v148, 0
	v_mad_u64_u32 v[130:131], null, s0, v151, 0
	;; [unrolled: 1-line block ×3, first 2 shown]
	v_add_f64 v[50:51], v[158:159], -v[48:49]
	v_add_f64 v[48:49], v[160:161], -v[52:53]
	;; [unrolled: 1-line block ×12, first 2 shown]
	v_fma_f64 v[118:119], v[158:159], 2.0, -v[50:51]
	v_fma_f64 v[120:121], v[160:161], 2.0, -v[48:49]
	v_fma_f64 v[62:63], v[154:155], 2.0, -v[82:83]
	v_fma_f64 v[68:69], v[116:117], 2.0, -v[56:57]
	v_add_f64 v[56:57], v[50:51], v[56:57]
	v_fma_f64 v[116:117], v[162:163], 2.0, -v[54:55]
	v_fma_f64 v[122:123], v[164:165], 2.0, -v[52:53]
	;; [unrolled: 1-line block ×4, first 2 shown]
	v_add_f64 v[58:59], v[48:49], -v[82:83]
	v_add_f64 v[64:65], v[54:55], v[64:65]
	v_fma_f64 v[124:125], v[84:85], 2.0, -v[112:113]
	v_fma_f64 v[126:127], v[86:87], 2.0, -v[114:115]
	v_fma_f64 v[84:85], v[70:71], 2.0, -v[74:75]
	v_fma_f64 v[86:87], v[72:73], 2.0, -v[76:77]
	v_add_f64 v[66:67], v[52:53], -v[66:67]
	v_add_f64 v[72:73], v[112:113], v[76:77]
	v_add_f64 v[74:75], v[114:115], -v[74:75]
	v_add_f64 v[60:61], v[118:119], -v[62:63]
	;; [unrolled: 1-line block ×5, first 2 shown]
	v_fma_f64 v[80:81], v[50:51], 2.0, -v[56:57]
	v_fma_f64 v[82:83], v[48:49], 2.0, -v[58:59]
	v_add_f64 v[76:77], v[124:125], -v[84:85]
	v_add_f64 v[78:79], v[126:127], -v[86:87]
	v_fma_f64 v[84:85], v[54:55], 2.0, -v[64:65]
	v_fma_f64 v[86:87], v[52:53], 2.0, -v[66:67]
	;; [unrolled: 1-line block ×6, first 2 shown]
	v_mad_u64_u32 v[120:121], null, s3, v148, v[129:130]
	v_mov_b32_e32 v121, v131
	s_load_dwordx2 s[2:3], s[4:5], 0x38
	v_fma_f64 v[52:53], v[116:117], 2.0, -v[68:69]
	v_fma_f64 v[54:55], v[122:123], 2.0, -v[70:71]
	s_mul_i32 s5, s1, 0x300
	v_mad_u64_u32 v[121:122], null, s1, v151, v[121:122]
	v_mov_b32_e32 v129, v120
	v_fma_f64 v[116:117], v[124:125], 2.0, -v[76:77]
	v_fma_f64 v[118:119], v[126:127], 2.0, -v[78:79]
	ds_write_b128 v153, v[48:51]
	ds_write_b128 v152, v[80:83] offset:576
	ds_write_b128 v152, v[60:63] offset:1152
	;; [unrolled: 1-line block ×3, first 2 shown]
	ds_write_b128 v157, v[52:55]
	ds_write_b128 v157, v[84:87] offset:576
	ds_write_b128 v157, v[68:71] offset:1152
	;; [unrolled: 1-line block ×7, first 2 shown]
	s_waitcnt lgkmcnt(0)
	s_barrier
	buffer_gl0_inv
	ds_read_b128 v[54:57], v152 offset:2304
	ds_read_b128 v[58:61], v152 offset:2688
	;; [unrolled: 1-line block ×6, first 2 shown]
	v_mov_b32_e32 v131, v121
	v_lshlrev_b64 v[48:49], 4, v[128:129]
	v_mad_u64_u32 v[118:119], null, s0, v150, 0
	s_mul_i32 s4, s0, 0x300
	v_lshlrev_b64 v[50:51], 4, v[130:131]
	s_add_i32 s5, s6, s5
	v_add_co_u32 v52, vcc_lo, s2, v48
	v_add_co_ci_u32_e32 v53, vcc_lo, s3, v49, vcc_lo
	s_mul_i32 s6, s1, 0x600
	v_add_co_u32 v48, vcc_lo, v52, v50
	v_add_co_ci_u32_e32 v49, vcc_lo, v53, v51, vcc_lo
	s_waitcnt lgkmcnt(5)
	v_mul_f64 v[86:87], v[90:91], v[56:57]
	v_mul_f64 v[90:91], v[90:91], v[54:55]
	s_waitcnt lgkmcnt(4)
	v_mul_f64 v[120:121], v[94:95], v[60:61]
	v_mul_f64 v[94:95], v[94:95], v[58:59]
	;; [unrolled: 3-line block ×6, first 2 shown]
	ds_read_b128 v[78:81], v153
	ds_read_b128 v[82:85], v152 offset:384
	ds_read_b128 v[110:113], v152 offset:768
	;; [unrolled: 1-line block ×3, first 2 shown]
	v_add_co_u32 v50, vcc_lo, v48, s4
	v_add_co_ci_u32_e32 v51, vcc_lo, s5, v49, vcc_lo
	s_mov_b32 s2, 0x1c71c71c
	s_mov_b32 s3, 0x3f6c71c7
	v_mad_u64_u32 v[134:135], null, 0x600, s0, v[50:51]
	v_fma_f64 v[86:87], v[88:89], v[54:55], v[86:87]
	v_fma_f64 v[88:89], v[88:89], v[56:57], -v[90:91]
	v_fma_f64 v[90:91], v[92:93], v[58:59], v[120:121]
	v_fma_f64 v[92:93], v[92:93], v[60:61], -v[94:95]
	;; [unrolled: 2-line block ×5, first 2 shown]
	v_fma_f64 v[106:107], v[100:101], v[74:75], v[130:131]
	ds_read_b128 v[54:57], v152 offset:1536
	ds_read_b128 v[58:61], v152 offset:1920
	v_fma_f64 v[100:101], v[100:101], v[76:77], -v[102:103]
	v_mov_b32_e32 v62, v133
	v_add_nc_u32_e32 v135, s6, v135
	v_mad_u64_u32 v[122:123], null, s1, v149, v[62:63]
	v_mad_u64_u32 v[123:124], null, 0x600, s0, v[134:135]
	s_waitcnt lgkmcnt(5)
	v_add_f64 v[62:63], v[78:79], -v[86:87]
	v_add_f64 v[64:65], v[80:81], -v[88:89]
	s_waitcnt lgkmcnt(4)
	v_add_f64 v[66:67], v[82:83], -v[90:91]
	v_add_f64 v[68:69], v[84:85], -v[92:93]
	;; [unrolled: 3-line block ×5, first 2 shown]
	s_waitcnt lgkmcnt(0)
	v_add_f64 v[90:91], v[58:59], -v[106:107]
	v_mad_u64_u32 v[102:103], null, s1, v150, v[119:120]
	v_add_f64 v[92:93], v[60:61], -v[100:101]
	v_mov_b32_e32 v133, v122
	v_add_nc_u32_e32 v124, s6, v124
	s_mulk_i32 s1, 0xf280
	v_mov_b32_e32 v119, v102
	v_lshlrev_b64 v[106:107], 4, v[132:133]
	v_mad_u64_u32 v[104:105], null, 0xfffff280, s0, v[123:124]
	v_fma_f64 v[78:79], v[78:79], 2.0, -v[62:63]
	v_fma_f64 v[80:81], v[80:81], 2.0, -v[64:65]
	;; [unrolled: 1-line block ×11, first 2 shown]
	v_lshlrev_b64 v[102:103], 4, v[118:119]
	v_fma_f64 v[60:61], v[60:61], 2.0, -v[92:93]
	ds_write_b128 v153, v[78:81]
	ds_write_b128 v152, v[62:65] offset:2304
	ds_write_b128 v152, v[82:85] offset:384
	;; [unrolled: 1-line block ×11, first 2 shown]
	s_waitcnt lgkmcnt(0)
	s_barrier
	buffer_gl0_inv
	ds_read_b128 v[54:57], v153
	ds_read_b128 v[58:61], v152 offset:768
	ds_read_b128 v[62:65], v152 offset:1536
	ds_read_b128 v[66:69], v152 offset:2304
	ds_read_b128 v[70:73], v152 offset:3072
	ds_read_b128 v[74:77], v152 offset:3840
	ds_read_b128 v[78:81], v152 offset:384
	ds_read_b128 v[82:85], v152 offset:1152
	ds_read_b128 v[86:89], v152 offset:1920
	ds_read_b128 v[90:93], v152 offset:2688
	ds_read_b128 v[94:97], v152 offset:3456
	ds_read_b128 v[98:101], v152 offset:4224
	s_sub_i32 s0, s1, s0
	v_add_co_u32 v102, vcc_lo, v52, v102
	v_add_nc_u32_e32 v105, s0, v105
	v_add_co_ci_u32_e32 v103, vcc_lo, v53, v103, vcc_lo
	v_add_co_u32 v108, vcc_lo, v104, s4
	v_add_co_ci_u32_e32 v109, vcc_lo, s5, v105, vcc_lo
	v_add_co_u32 v110, vcc_lo, v108, s4
	v_add_co_ci_u32_e32 v111, vcc_lo, s5, v109, vcc_lo
	s_waitcnt lgkmcnt(11)
	v_mul_f64 v[114:115], v[14:15], v[56:57]
	v_mul_f64 v[14:15], v[14:15], v[54:55]
	s_waitcnt lgkmcnt(10)
	v_mul_f64 v[116:117], v[18:19], v[60:61]
	v_mul_f64 v[18:19], v[18:19], v[58:59]
	;; [unrolled: 3-line block ×12, first 2 shown]
	v_fma_f64 v[54:55], v[12:13], v[54:55], v[114:115]
	v_fma_f64 v[12:13], v[12:13], v[56:57], -v[14:15]
	v_fma_f64 v[14:15], v[16:17], v[58:59], v[116:117]
	v_fma_f64 v[16:17], v[16:17], v[60:61], -v[18:19]
	;; [unrolled: 2-line block ×12, first 2 shown]
	v_mul_f64 v[0:1], v[54:55], s[2:3]
	v_mul_f64 v[2:3], v[12:13], s[2:3]
	;; [unrolled: 1-line block ×18, first 2 shown]
	v_add_co_u32 v112, vcc_lo, v110, s4
	v_mul_f64 v[36:37], v[66:67], s[2:3]
	v_mul_f64 v[38:39], v[68:69], s[2:3]
	;; [unrolled: 1-line block ×4, first 2 shown]
	v_add_co_ci_u32_e32 v113, vcc_lo, s5, v111, vcc_lo
	v_mul_f64 v[44:45], v[72:73], s[2:3]
	v_mul_f64 v[46:47], v[46:47], s[2:3]
	v_add_co_u32 v54, vcc_lo, v112, s4
	v_add_co_ci_u32_e32 v55, vcc_lo, s5, v113, vcc_lo
	v_add_co_u32 v52, vcc_lo, v52, v106
	v_add_co_ci_u32_e32 v53, vcc_lo, v53, v107, vcc_lo
	;; [unrolled: 2-line block ×3, first 2 shown]
	global_store_dwordx4 v[48:49], v[0:3], off
	global_store_dwordx4 v[50:51], v[4:7], off
	;; [unrolled: 1-line block ×12, first 2 shown]
.LBB0_2:
	s_endpgm
	.section	.rodata,"a",@progbits
	.p2align	6, 0x0
	.amdhsa_kernel bluestein_single_back_len288_dim1_dp_op_CI_CI
		.amdhsa_group_segment_fixed_size 23040
		.amdhsa_private_segment_fixed_size 0
		.amdhsa_kernarg_size 104
		.amdhsa_user_sgpr_count 6
		.amdhsa_user_sgpr_private_segment_buffer 1
		.amdhsa_user_sgpr_dispatch_ptr 0
		.amdhsa_user_sgpr_queue_ptr 0
		.amdhsa_user_sgpr_kernarg_segment_ptr 1
		.amdhsa_user_sgpr_dispatch_id 0
		.amdhsa_user_sgpr_flat_scratch_init 0
		.amdhsa_user_sgpr_private_segment_size 0
		.amdhsa_wavefront_size32 1
		.amdhsa_uses_dynamic_stack 0
		.amdhsa_system_sgpr_private_segment_wavefront_offset 0
		.amdhsa_system_sgpr_workgroup_id_x 1
		.amdhsa_system_sgpr_workgroup_id_y 0
		.amdhsa_system_sgpr_workgroup_id_z 0
		.amdhsa_system_sgpr_workgroup_info 0
		.amdhsa_system_vgpr_workitem_id 0
		.amdhsa_next_free_vgpr 245
		.amdhsa_next_free_sgpr 20
		.amdhsa_reserve_vcc 1
		.amdhsa_reserve_flat_scratch 0
		.amdhsa_float_round_mode_32 0
		.amdhsa_float_round_mode_16_64 0
		.amdhsa_float_denorm_mode_32 3
		.amdhsa_float_denorm_mode_16_64 3
		.amdhsa_dx10_clamp 1
		.amdhsa_ieee_mode 1
		.amdhsa_fp16_overflow 0
		.amdhsa_workgroup_processor_mode 1
		.amdhsa_memory_ordered 1
		.amdhsa_forward_progress 0
		.amdhsa_shared_vgpr_count 0
		.amdhsa_exception_fp_ieee_invalid_op 0
		.amdhsa_exception_fp_denorm_src 0
		.amdhsa_exception_fp_ieee_div_zero 0
		.amdhsa_exception_fp_ieee_overflow 0
		.amdhsa_exception_fp_ieee_underflow 0
		.amdhsa_exception_fp_ieee_inexact 0
		.amdhsa_exception_int_div_zero 0
	.end_amdhsa_kernel
	.text
.Lfunc_end0:
	.size	bluestein_single_back_len288_dim1_dp_op_CI_CI, .Lfunc_end0-bluestein_single_back_len288_dim1_dp_op_CI_CI
                                        ; -- End function
	.section	.AMDGPU.csdata,"",@progbits
; Kernel info:
; codeLenInByte = 11652
; NumSgprs: 22
; NumVgprs: 245
; ScratchSize: 0
; MemoryBound: 0
; FloatMode: 240
; IeeeMode: 1
; LDSByteSize: 23040 bytes/workgroup (compile time only)
; SGPRBlocks: 2
; VGPRBlocks: 30
; NumSGPRsForWavesPerEU: 22
; NumVGPRsForWavesPerEU: 245
; Occupancy: 4
; WaveLimiterHint : 1
; COMPUTE_PGM_RSRC2:SCRATCH_EN: 0
; COMPUTE_PGM_RSRC2:USER_SGPR: 6
; COMPUTE_PGM_RSRC2:TRAP_HANDLER: 0
; COMPUTE_PGM_RSRC2:TGID_X_EN: 1
; COMPUTE_PGM_RSRC2:TGID_Y_EN: 0
; COMPUTE_PGM_RSRC2:TGID_Z_EN: 0
; COMPUTE_PGM_RSRC2:TIDIG_COMP_CNT: 0
	.text
	.p2alignl 6, 3214868480
	.fill 48, 4, 3214868480
	.type	__hip_cuid_9f32ce9398967635,@object ; @__hip_cuid_9f32ce9398967635
	.section	.bss,"aw",@nobits
	.globl	__hip_cuid_9f32ce9398967635
__hip_cuid_9f32ce9398967635:
	.byte	0                               ; 0x0
	.size	__hip_cuid_9f32ce9398967635, 1

	.ident	"AMD clang version 19.0.0git (https://github.com/RadeonOpenCompute/llvm-project roc-6.4.0 25133 c7fe45cf4b819c5991fe208aaa96edf142730f1d)"
	.section	".note.GNU-stack","",@progbits
	.addrsig
	.addrsig_sym __hip_cuid_9f32ce9398967635
	.amdgpu_metadata
---
amdhsa.kernels:
  - .args:
      - .actual_access:  read_only
        .address_space:  global
        .offset:         0
        .size:           8
        .value_kind:     global_buffer
      - .actual_access:  read_only
        .address_space:  global
        .offset:         8
        .size:           8
        .value_kind:     global_buffer
      - .actual_access:  read_only
        .address_space:  global
        .offset:         16
        .size:           8
        .value_kind:     global_buffer
      - .actual_access:  read_only
        .address_space:  global
        .offset:         24
        .size:           8
        .value_kind:     global_buffer
      - .actual_access:  read_only
        .address_space:  global
        .offset:         32
        .size:           8
        .value_kind:     global_buffer
      - .offset:         40
        .size:           8
        .value_kind:     by_value
      - .address_space:  global
        .offset:         48
        .size:           8
        .value_kind:     global_buffer
      - .address_space:  global
        .offset:         56
        .size:           8
        .value_kind:     global_buffer
      - .address_space:  global
        .offset:         64
        .size:           8
        .value_kind:     global_buffer
      - .address_space:  global
        .offset:         72
        .size:           8
        .value_kind:     global_buffer
      - .offset:         80
        .size:           4
        .value_kind:     by_value
      - .address_space:  global
        .offset:         88
        .size:           8
        .value_kind:     global_buffer
      - .address_space:  global
        .offset:         96
        .size:           8
        .value_kind:     global_buffer
    .group_segment_fixed_size: 23040
    .kernarg_segment_align: 8
    .kernarg_segment_size: 104
    .language:       OpenCL C
    .language_version:
      - 2
      - 0
    .max_flat_workgroup_size: 120
    .name:           bluestein_single_back_len288_dim1_dp_op_CI_CI
    .private_segment_fixed_size: 0
    .sgpr_count:     22
    .sgpr_spill_count: 0
    .symbol:         bluestein_single_back_len288_dim1_dp_op_CI_CI.kd
    .uniform_work_group_size: 1
    .uses_dynamic_stack: false
    .vgpr_count:     245
    .vgpr_spill_count: 0
    .wavefront_size: 32
    .workgroup_processor_mode: 1
amdhsa.target:   amdgcn-amd-amdhsa--gfx1030
amdhsa.version:
  - 1
  - 2
...

	.end_amdgpu_metadata
